;; amdgpu-corpus repo=ROCm/rocFFT kind=compiled arch=gfx1030 opt=O3
	.text
	.amdgcn_target "amdgcn-amd-amdhsa--gfx1030"
	.amdhsa_code_object_version 6
	.protected	fft_rtc_back_len1320_factors_11_2_3_5_4_wgs_165_tpt_165_sp_ip_CI_unitstride_sbrr_C2R_dirReg ; -- Begin function fft_rtc_back_len1320_factors_11_2_3_5_4_wgs_165_tpt_165_sp_ip_CI_unitstride_sbrr_C2R_dirReg
	.globl	fft_rtc_back_len1320_factors_11_2_3_5_4_wgs_165_tpt_165_sp_ip_CI_unitstride_sbrr_C2R_dirReg
	.p2align	8
	.type	fft_rtc_back_len1320_factors_11_2_3_5_4_wgs_165_tpt_165_sp_ip_CI_unitstride_sbrr_C2R_dirReg,@function
fft_rtc_back_len1320_factors_11_2_3_5_4_wgs_165_tpt_165_sp_ip_CI_unitstride_sbrr_C2R_dirReg: ; @fft_rtc_back_len1320_factors_11_2_3_5_4_wgs_165_tpt_165_sp_ip_CI_unitstride_sbrr_C2R_dirReg
; %bb.0:
	s_clause 0x2
	s_load_dwordx4 s[8:11], s[4:5], 0x0
	s_load_dwordx2 s[2:3], s[4:5], 0x50
	s_load_dwordx2 s[12:13], s[4:5], 0x18
	v_mul_u32_u24_e32 v1, 0x18e, v0
	v_mov_b32_e32 v3, 0
	v_add_nc_u32_sdwa v5, s6, v1 dst_sel:DWORD dst_unused:UNUSED_PAD src0_sel:DWORD src1_sel:WORD_1
	v_mov_b32_e32 v1, 0
	v_mov_b32_e32 v6, v3
	v_mov_b32_e32 v2, 0
	s_waitcnt lgkmcnt(0)
	v_cmp_lt_u64_e64 s0, s[10:11], 2
	s_and_b32 vcc_lo, exec_lo, s0
	s_cbranch_vccnz .LBB0_8
; %bb.1:
	s_load_dwordx2 s[0:1], s[4:5], 0x10
	v_mov_b32_e32 v1, 0
	s_add_u32 s6, s12, 8
	v_mov_b32_e32 v2, 0
	s_addc_u32 s7, s13, 0
	s_mov_b64 s[16:17], 1
	s_waitcnt lgkmcnt(0)
	s_add_u32 s14, s0, 8
	s_addc_u32 s15, s1, 0
.LBB0_2:                                ; =>This Inner Loop Header: Depth=1
	s_load_dwordx2 s[18:19], s[14:15], 0x0
                                        ; implicit-def: $vgpr7_vgpr8
	s_mov_b32 s0, exec_lo
	s_waitcnt lgkmcnt(0)
	v_or_b32_e32 v4, s19, v6
	v_cmpx_ne_u64_e32 0, v[3:4]
	s_xor_b32 s1, exec_lo, s0
	s_cbranch_execz .LBB0_4
; %bb.3:                                ;   in Loop: Header=BB0_2 Depth=1
	v_cvt_f32_u32_e32 v4, s18
	v_cvt_f32_u32_e32 v7, s19
	s_sub_u32 s0, 0, s18
	s_subb_u32 s20, 0, s19
	v_fmac_f32_e32 v4, 0x4f800000, v7
	v_rcp_f32_e32 v4, v4
	v_mul_f32_e32 v4, 0x5f7ffffc, v4
	v_mul_f32_e32 v7, 0x2f800000, v4
	v_trunc_f32_e32 v7, v7
	v_fmac_f32_e32 v4, 0xcf800000, v7
	v_cvt_u32_f32_e32 v7, v7
	v_cvt_u32_f32_e32 v4, v4
	v_mul_lo_u32 v8, s0, v7
	v_mul_hi_u32 v9, s0, v4
	v_mul_lo_u32 v10, s20, v4
	v_add_nc_u32_e32 v8, v9, v8
	v_mul_lo_u32 v9, s0, v4
	v_add_nc_u32_e32 v8, v8, v10
	v_mul_hi_u32 v10, v4, v9
	v_mul_lo_u32 v11, v4, v8
	v_mul_hi_u32 v12, v4, v8
	v_mul_hi_u32 v13, v7, v9
	v_mul_lo_u32 v9, v7, v9
	v_mul_hi_u32 v14, v7, v8
	v_mul_lo_u32 v8, v7, v8
	v_add_co_u32 v10, vcc_lo, v10, v11
	v_add_co_ci_u32_e32 v11, vcc_lo, 0, v12, vcc_lo
	v_add_co_u32 v9, vcc_lo, v10, v9
	v_add_co_ci_u32_e32 v9, vcc_lo, v11, v13, vcc_lo
	v_add_co_ci_u32_e32 v10, vcc_lo, 0, v14, vcc_lo
	v_add_co_u32 v8, vcc_lo, v9, v8
	v_add_co_ci_u32_e32 v9, vcc_lo, 0, v10, vcc_lo
	v_add_co_u32 v4, vcc_lo, v4, v8
	v_add_co_ci_u32_e32 v7, vcc_lo, v7, v9, vcc_lo
	v_mul_hi_u32 v8, s0, v4
	v_mul_lo_u32 v10, s20, v4
	v_mul_lo_u32 v9, s0, v7
	v_add_nc_u32_e32 v8, v8, v9
	v_mul_lo_u32 v9, s0, v4
	v_add_nc_u32_e32 v8, v8, v10
	v_mul_hi_u32 v10, v4, v9
	v_mul_lo_u32 v11, v4, v8
	v_mul_hi_u32 v12, v4, v8
	v_mul_hi_u32 v13, v7, v9
	v_mul_lo_u32 v9, v7, v9
	v_mul_hi_u32 v14, v7, v8
	v_mul_lo_u32 v8, v7, v8
	v_add_co_u32 v10, vcc_lo, v10, v11
	v_add_co_ci_u32_e32 v11, vcc_lo, 0, v12, vcc_lo
	v_add_co_u32 v9, vcc_lo, v10, v9
	v_add_co_ci_u32_e32 v9, vcc_lo, v11, v13, vcc_lo
	v_add_co_ci_u32_e32 v10, vcc_lo, 0, v14, vcc_lo
	v_add_co_u32 v8, vcc_lo, v9, v8
	v_add_co_ci_u32_e32 v9, vcc_lo, 0, v10, vcc_lo
	v_add_co_u32 v4, vcc_lo, v4, v8
	v_add_co_ci_u32_e32 v11, vcc_lo, v7, v9, vcc_lo
	v_mul_hi_u32 v13, v5, v4
	v_mad_u64_u32 v[9:10], null, v6, v4, 0
	v_mad_u64_u32 v[7:8], null, v5, v11, 0
	;; [unrolled: 1-line block ×3, first 2 shown]
	v_add_co_u32 v4, vcc_lo, v13, v7
	v_add_co_ci_u32_e32 v7, vcc_lo, 0, v8, vcc_lo
	v_add_co_u32 v4, vcc_lo, v4, v9
	v_add_co_ci_u32_e32 v4, vcc_lo, v7, v10, vcc_lo
	v_add_co_ci_u32_e32 v7, vcc_lo, 0, v12, vcc_lo
	v_add_co_u32 v4, vcc_lo, v4, v11
	v_add_co_ci_u32_e32 v9, vcc_lo, 0, v7, vcc_lo
	v_mul_lo_u32 v10, s19, v4
	v_mad_u64_u32 v[7:8], null, s18, v4, 0
	v_mul_lo_u32 v11, s18, v9
	v_sub_co_u32 v7, vcc_lo, v5, v7
	v_add3_u32 v8, v8, v11, v10
	v_sub_nc_u32_e32 v10, v6, v8
	v_subrev_co_ci_u32_e64 v10, s0, s19, v10, vcc_lo
	v_add_co_u32 v11, s0, v4, 2
	v_add_co_ci_u32_e64 v12, s0, 0, v9, s0
	v_sub_co_u32 v13, s0, v7, s18
	v_sub_co_ci_u32_e32 v8, vcc_lo, v6, v8, vcc_lo
	v_subrev_co_ci_u32_e64 v10, s0, 0, v10, s0
	v_cmp_le_u32_e32 vcc_lo, s18, v13
	v_cmp_eq_u32_e64 s0, s19, v8
	v_cndmask_b32_e64 v13, 0, -1, vcc_lo
	v_cmp_le_u32_e32 vcc_lo, s19, v10
	v_cndmask_b32_e64 v14, 0, -1, vcc_lo
	v_cmp_le_u32_e32 vcc_lo, s18, v7
	;; [unrolled: 2-line block ×3, first 2 shown]
	v_cndmask_b32_e64 v15, 0, -1, vcc_lo
	v_cmp_eq_u32_e32 vcc_lo, s19, v10
	v_cndmask_b32_e64 v7, v15, v7, s0
	v_cndmask_b32_e32 v10, v14, v13, vcc_lo
	v_add_co_u32 v13, vcc_lo, v4, 1
	v_add_co_ci_u32_e32 v14, vcc_lo, 0, v9, vcc_lo
	v_cmp_ne_u32_e32 vcc_lo, 0, v10
	v_cndmask_b32_e32 v8, v14, v12, vcc_lo
	v_cndmask_b32_e32 v10, v13, v11, vcc_lo
	v_cmp_ne_u32_e32 vcc_lo, 0, v7
	v_cndmask_b32_e32 v8, v9, v8, vcc_lo
	v_cndmask_b32_e32 v7, v4, v10, vcc_lo
.LBB0_4:                                ;   in Loop: Header=BB0_2 Depth=1
	s_andn2_saveexec_b32 s0, s1
	s_cbranch_execz .LBB0_6
; %bb.5:                                ;   in Loop: Header=BB0_2 Depth=1
	v_cvt_f32_u32_e32 v4, s18
	s_sub_i32 s1, 0, s18
	v_rcp_iflag_f32_e32 v4, v4
	v_mul_f32_e32 v4, 0x4f7ffffe, v4
	v_cvt_u32_f32_e32 v4, v4
	v_mul_lo_u32 v7, s1, v4
	v_mul_hi_u32 v7, v4, v7
	v_add_nc_u32_e32 v4, v4, v7
	v_mul_hi_u32 v4, v5, v4
	v_mul_lo_u32 v7, v4, s18
	v_add_nc_u32_e32 v8, 1, v4
	v_sub_nc_u32_e32 v7, v5, v7
	v_subrev_nc_u32_e32 v9, s18, v7
	v_cmp_le_u32_e32 vcc_lo, s18, v7
	v_cndmask_b32_e32 v7, v7, v9, vcc_lo
	v_cndmask_b32_e32 v4, v4, v8, vcc_lo
	v_cmp_le_u32_e32 vcc_lo, s18, v7
	v_add_nc_u32_e32 v8, 1, v4
	v_cndmask_b32_e32 v7, v4, v8, vcc_lo
	v_mov_b32_e32 v8, v3
.LBB0_6:                                ;   in Loop: Header=BB0_2 Depth=1
	s_or_b32 exec_lo, exec_lo, s0
	s_load_dwordx2 s[0:1], s[6:7], 0x0
	v_mul_lo_u32 v4, v8, s18
	v_mul_lo_u32 v11, v7, s19
	v_mad_u64_u32 v[9:10], null, v7, s18, 0
	s_add_u32 s16, s16, 1
	s_addc_u32 s17, s17, 0
	s_add_u32 s6, s6, 8
	s_addc_u32 s7, s7, 0
	;; [unrolled: 2-line block ×3, first 2 shown]
	v_add3_u32 v4, v10, v11, v4
	v_sub_co_u32 v5, vcc_lo, v5, v9
	v_sub_co_ci_u32_e32 v4, vcc_lo, v6, v4, vcc_lo
	s_waitcnt lgkmcnt(0)
	v_mul_lo_u32 v6, s1, v5
	v_mul_lo_u32 v4, s0, v4
	v_mad_u64_u32 v[1:2], null, s0, v5, v[1:2]
	v_cmp_ge_u64_e64 s0, s[16:17], s[10:11]
	s_and_b32 vcc_lo, exec_lo, s0
	v_add3_u32 v2, v6, v2, v4
	s_cbranch_vccnz .LBB0_9
; %bb.7:                                ;   in Loop: Header=BB0_2 Depth=1
	v_mov_b32_e32 v5, v7
	v_mov_b32_e32 v6, v8
	s_branch .LBB0_2
.LBB0_8:
	v_mov_b32_e32 v8, v6
	v_mov_b32_e32 v7, v5
.LBB0_9:
	s_lshl_b64 s[0:1], s[10:11], 3
	v_mul_hi_u32 v5, 0x18d3019, v0
	s_add_u32 s0, s12, s0
	s_addc_u32 s1, s13, s1
	s_load_dwordx2 s[0:1], s[0:1], 0x0
	s_load_dwordx2 s[4:5], s[4:5], 0x20
	s_waitcnt lgkmcnt(0)
	v_mul_lo_u32 v3, s0, v8
	v_mul_lo_u32 v4, s1, v7
	v_mad_u64_u32 v[1:2], null, s0, v7, v[1:2]
	v_cmp_gt_u64_e32 vcc_lo, s[4:5], v[7:8]
	v_add3_u32 v2, v4, v2, v3
	v_mul_u32_u24_e32 v3, 0xa5, v5
	v_lshlrev_b64 v[22:23], 3, v[1:2]
	v_sub_nc_u32_e32 v20, v0, v3
	s_and_saveexec_b32 s1, vcc_lo
	s_cbranch_execz .LBB0_13
; %bb.10:
	v_mov_b32_e32 v21, 0
	v_add_co_u32 v0, s0, s2, v22
	v_add_co_ci_u32_e64 v1, s0, s3, v23, s0
	v_lshlrev_b64 v[2:3], 3, v[20:21]
	v_lshl_add_u32 v18, v20, 3, 0
	s_mov_b32 s4, exec_lo
	v_add_nc_u32_e32 v19, 0x800, v18
	v_add_co_u32 v2, s0, v0, v2
	v_add_co_ci_u32_e64 v3, s0, v1, v3, s0
	v_add_nc_u32_e32 v24, 0x1400, v18
	v_add_co_u32 v4, s0, 0x800, v2
	v_add_co_ci_u32_e64 v5, s0, 0, v3, s0
	v_add_co_u32 v6, s0, 0x1000, v2
	v_add_co_ci_u32_e64 v7, s0, 0, v3, s0
	;; [unrolled: 2-line block ×4, first 2 shown]
	s_clause 0x7
	global_load_dwordx2 v[12:13], v[2:3], off
	global_load_dwordx2 v[2:3], v[2:3], off offset:1320
	global_load_dwordx2 v[14:15], v[4:5], off offset:592
	;; [unrolled: 1-line block ×7, first 2 shown]
	v_add_nc_u32_e32 v25, 0x1e00, v18
	s_waitcnt vmcnt(6)
	ds_write2_b64 v18, v[12:13], v[2:3] offset1:165
	s_waitcnt vmcnt(4)
	ds_write2_b64 v19, v[14:15], v[4:5] offset0:74 offset1:239
	s_waitcnt vmcnt(2)
	ds_write2_b64 v24, v[6:7], v[16:17] offset0:20 offset1:185
	;; [unrolled: 2-line block ×3, first 2 shown]
	v_cmpx_eq_u32_e32 0xa4, v20
	s_cbranch_execz .LBB0_12
; %bb.11:
	v_add_co_u32 v0, s0, 0x2800, v0
	v_add_co_ci_u32_e64 v1, s0, 0, v1, s0
	v_mov_b32_e32 v20, 0xa4
	global_load_dwordx2 v[0:1], v[0:1], off offset:320
	s_waitcnt vmcnt(0)
	ds_write_b64 v21, v[0:1] offset:10560
.LBB0_12:
	s_or_b32 exec_lo, exec_lo, s4
.LBB0_13:
	s_or_b32 exec_lo, exec_lo, s1
	v_lshlrev_b32_e32 v0, 3, v20
	s_waitcnt lgkmcnt(0)
	s_barrier
	buffer_gl0_inv
	s_add_u32 s1, s8, 0x28e8
	v_add_nc_u32_e32 v30, 0, v0
	v_sub_nc_u32_e32 v4, 0, v0
	s_addc_u32 s4, s9, 0
	s_mov_b32 s5, exec_lo
                                        ; implicit-def: $vgpr2_vgpr3
	ds_read_b32 v5, v30
	ds_read_b32 v6, v4 offset:10560
	s_waitcnt lgkmcnt(0)
	v_add_f32_e32 v0, v6, v5
	v_sub_f32_e32 v1, v5, v6
	v_cmpx_ne_u32_e32 0, v20
	s_xor_b32 s5, exec_lo, s5
	s_cbranch_execz .LBB0_15
; %bb.14:
	v_mov_b32_e32 v21, 0
	v_add_f32_e32 v7, v6, v5
	v_sub_f32_e32 v8, v5, v6
	v_lshlrev_b64 v[0:1], 3, v[20:21]
	v_add_co_u32 v0, s0, s1, v0
	v_add_co_ci_u32_e64 v1, s0, s4, v1, s0
	global_load_dwordx2 v[2:3], v[0:1], off
	ds_read_b32 v0, v4 offset:10564
	ds_read_b32 v1, v30 offset:4
	s_waitcnt lgkmcnt(0)
	v_add_f32_e32 v9, v0, v1
	v_sub_f32_e32 v0, v1, v0
	s_waitcnt vmcnt(0)
	v_fma_f32 v5, -v8, v3, v7
	v_fma_f32 v6, v9, v3, -v0
	v_fma_f32 v10, v8, v3, v7
	v_fma_f32 v1, v9, v3, v0
	v_fmac_f32_e32 v5, v2, v9
	v_fmac_f32_e32 v6, v8, v2
	v_fma_f32 v0, -v2, v9, v10
	v_fmac_f32_e32 v1, v8, v2
	v_mov_b32_e32 v2, v20
	v_mov_b32_e32 v3, v21
	ds_write_b64 v4, v[5:6] offset:10560
.LBB0_15:
	s_andn2_saveexec_b32 s0, s5
	s_cbranch_execz .LBB0_17
; %bb.16:
	v_mov_b32_e32 v7, 0
	ds_read_b64 v[2:3], v7 offset:5280
	s_waitcnt lgkmcnt(0)
	v_add_f32_e32 v5, v2, v2
	v_mul_f32_e32 v6, -2.0, v3
	v_mov_b32_e32 v2, 0
	v_mov_b32_e32 v3, 0
	ds_write_b64 v7, v[5:6] offset:5280
.LBB0_17:
	s_or_b32 exec_lo, exec_lo, s0
	v_lshlrev_b64 v[2:3], 3, v[2:3]
	v_add_nc_u32_e32 v21, 0xc00, v30
	v_add_nc_u32_e32 v31, 0x1400, v30
	v_add_co_u32 v2, s0, s1, v2
	v_add_co_ci_u32_e64 v3, s0, s4, v3, s0
	s_mov_b32 s1, exec_lo
	global_load_dwordx2 v[5:6], v[2:3], off offset:1320
	v_add_co_u32 v2, s0, 0x800, v2
	v_add_co_ci_u32_e64 v3, s0, 0, v3, s0
	s_clause 0x1
	global_load_dwordx2 v[7:8], v[2:3], off offset:592
	global_load_dwordx2 v[2:3], v[2:3], off offset:1912
	ds_write_b64 v30, v[0:1]
	ds_read_b64 v[0:1], v30 offset:1320
	ds_read_b64 v[9:10], v4 offset:9240
	s_waitcnt lgkmcnt(0)
	v_add_f32_e32 v11, v0, v9
	v_add_f32_e32 v12, v10, v1
	v_sub_f32_e32 v13, v0, v9
	v_sub_f32_e32 v0, v1, v10
	s_waitcnt vmcnt(2)
	v_fma_f32 v14, v13, v6, v11
	v_fma_f32 v1, v12, v6, v0
	v_fma_f32 v9, -v13, v6, v11
	v_fma_f32 v10, v12, v6, -v0
	v_fma_f32 v0, -v5, v12, v14
	v_fmac_f32_e32 v1, v13, v5
	v_fmac_f32_e32 v9, v5, v12
	;; [unrolled: 1-line block ×3, first 2 shown]
	ds_write_b64 v30, v[0:1] offset:1320
	ds_write_b64 v4, v[9:10] offset:9240
	ds_read_b64 v[0:1], v30 offset:2640
	ds_read_b64 v[5:6], v4 offset:7920
	s_waitcnt lgkmcnt(0)
	v_add_f32_e32 v9, v0, v5
	v_add_f32_e32 v10, v6, v1
	v_sub_f32_e32 v11, v0, v5
	v_sub_f32_e32 v0, v1, v6
	s_waitcnt vmcnt(1)
	v_fma_f32 v12, v11, v8, v9
	v_fma_f32 v1, v10, v8, v0
	v_fma_f32 v5, -v11, v8, v9
	v_fma_f32 v6, v10, v8, -v0
	v_fma_f32 v0, -v7, v10, v12
	v_fmac_f32_e32 v1, v11, v7
	v_fmac_f32_e32 v5, v7, v10
	v_fmac_f32_e32 v6, v11, v7
	ds_write_b64 v30, v[0:1] offset:2640
	ds_write_b64 v4, v[5:6] offset:7920
	ds_read_b64 v[0:1], v30 offset:3960
	ds_read_b64 v[5:6], v4 offset:6600
	s_waitcnt lgkmcnt(0)
	v_add_f32_e32 v7, v0, v5
	v_add_f32_e32 v8, v6, v1
	v_sub_f32_e32 v9, v0, v5
	v_sub_f32_e32 v0, v1, v6
	s_waitcnt vmcnt(0)
	v_fma_f32 v10, v9, v3, v7
	v_fma_f32 v1, v8, v3, v0
	v_fma_f32 v5, -v9, v3, v7
	v_fma_f32 v6, v8, v3, -v0
	v_add_nc_u32_e32 v7, 0x400, v30
	v_fma_f32 v0, -v2, v8, v10
	v_fmac_f32_e32 v1, v9, v2
	v_fmac_f32_e32 v5, v2, v8
	;; [unrolled: 1-line block ×3, first 2 shown]
	v_add_nc_u32_e32 v8, 0x1c00, v30
	ds_write_b64 v30, v[0:1] offset:3960
	ds_write_b64 v4, v[5:6] offset:6600
	s_waitcnt lgkmcnt(0)
	s_barrier
	buffer_gl0_inv
	s_barrier
	buffer_gl0_inv
	ds_read2_b64 v[0:3], v30 offset1:120
	ds_read_b64 v[28:29], v30 offset:9600
	ds_read2_b64 v[16:19], v7 offset0:112 offset1:232
	ds_read2_b64 v[4:7], v8 offset0:64 offset1:184
	ds_read2_b64 v[12:15], v21 offset0:96 offset1:216
	ds_read2_b64 v[8:11], v31 offset0:80 offset1:200
	s_waitcnt lgkmcnt(0)
	s_barrier
	buffer_gl0_inv
	v_add_f32_e32 v46, v29, v3
	v_sub_f32_e32 v42, v3, v29
	v_add_f32_e32 v32, v28, v2
	v_sub_f32_e32 v35, v2, v28
	;; [unrolled: 2-line block ×3, first 2 shown]
	v_mul_f32_e32 v58, 0xbf68dda4, v42
	v_mul_f32_e32 v61, 0x3ed4b147, v46
	;; [unrolled: 1-line block ×4, first 2 shown]
	v_add_f32_e32 v33, v6, v16
	v_sub_f32_e32 v34, v16, v6
	v_add_f32_e32 v49, v5, v19
	v_sub_f32_e32 v44, v19, v5
	v_mul_f32_e32 v57, 0xbf4178ce, v43
	v_mul_f32_e32 v60, 0xbf27a4f4, v47
	;; [unrolled: 1-line block ×4, first 2 shown]
	v_fma_f32 v24, 0x3ed4b147, v32, -v58
	v_fmamk_f32 v25, v35, 0xbf68dda4, v61
	v_fma_f32 v78, 0xbe11bafb, v32, -v66
	v_fmamk_f32 v80, v35, 0xbf7d64f0, v70
	v_add_f32_e32 v36, v4, v18
	v_sub_f32_e32 v37, v18, v4
	v_add_f32_e32 v50, v11, v13
	v_sub_f32_e32 v45, v13, v11
	v_mul_f32_e32 v55, 0x3e903f40, v44
	v_mul_f32_e32 v59, 0xbf75a155, v49
	;; [unrolled: 1-line block ×4, first 2 shown]
	v_fma_f32 v26, 0xbf27a4f4, v33, -v57
	v_fmamk_f32 v27, v34, 0xbf4178ce, v60
	v_fma_f32 v79, 0xbf75a155, v33, -v65
	v_fmamk_f32 v81, v34, 0x3e903f40, v71
	v_add_f32_e32 v24, v0, v24
	v_add_f32_e32 v25, v1, v25
	;; [unrolled: 1-line block ×5, first 2 shown]
	v_sub_f32_e32 v39, v12, v10
	v_sub_f32_e32 v48, v15, v9
	v_add_f32_e32 v51, v9, v15
	v_mul_f32_e32 v53, 0x3f7d64f0, v45
	v_mul_f32_e32 v56, 0xbe11bafb, v50
	v_mul_f32_e32 v63, 0xbf0a6770, v45
	v_mul_f32_e32 v68, 0x3f575c64, v50
	v_fma_f32 v72, 0xbf75a155, v36, -v55
	v_fmamk_f32 v73, v37, 0x3e903f40, v59
	v_fma_f32 v82, 0x3ed4b147, v36, -v67
	v_fmamk_f32 v83, v37, 0x3f68dda4, v69
	v_add_f32_e32 v24, v26, v24
	v_add_f32_e32 v25, v27, v25
	;; [unrolled: 1-line block ×5, first 2 shown]
	v_sub_f32_e32 v41, v14, v8
	v_mul_f32_e32 v52, 0x3f0a6770, v48
	v_mul_f32_e32 v54, 0x3f575c64, v51
	;; [unrolled: 1-line block ×4, first 2 shown]
	v_fma_f32 v74, 0xbe11bafb, v38, -v53
	v_fmamk_f32 v75, v39, 0x3f7d64f0, v56
	v_fma_f32 v84, 0x3f575c64, v38, -v63
	v_fmamk_f32 v85, v39, 0xbf0a6770, v68
	v_add_f32_e32 v24, v72, v24
	v_add_f32_e32 v25, v73, v25
	;; [unrolled: 1-line block ×4, first 2 shown]
	v_fma_f32 v76, 0x3f575c64, v40, -v52
	v_fmamk_f32 v77, v41, 0x3f0a6770, v54
	v_fma_f32 v78, 0xbf27a4f4, v40, -v62
	v_fmamk_f32 v72, v41, 0xbf4178ce, v64
	v_add_f32_e32 v24, v74, v24
	v_add_f32_e32 v25, v75, v25
	;; [unrolled: 1-line block ×8, first 2 shown]
	v_cmpx_gt_u32_e32 0x78, v20
	s_cbranch_execz .LBB0_19
; %bb.18:
	v_add_f32_e32 v3, v1, v3
	v_add_f32_e32 v2, v0, v2
	v_mul_f32_e32 v72, 0xbe903f40, v35
	v_mul_f32_e32 v73, 0x3f0a6770, v34
	;; [unrolled: 1-line block ×3, first 2 shown]
	v_add_f32_e32 v3, v3, v17
	v_add_f32_e32 v2, v2, v16
	v_fmamk_f32 v16, v46, 0xbf75a155, v72
	v_mul_f32_e32 v17, 0x3f0a6770, v43
	v_mul_f32_e32 v75, 0xbf4178ce, v37
	v_add_f32_e32 v3, v3, v19
	v_fmamk_f32 v19, v47, 0x3f575c64, v73
	v_fma_f32 v77, 0xbf75a155, v32, -v74
	v_add_f32_e32 v2, v2, v18
	v_mul_f32_e32 v76, 0xbf4178ce, v44
	v_add_f32_e32 v3, v3, v13
	v_add_f32_e32 v13, v1, v16
	v_fma_f32 v16, 0x3f575c64, v33, -v17
	v_add_f32_e32 v18, v0, v77
	v_add_f32_e32 v2, v2, v12
	;; [unrolled: 1-line block ×4, first 2 shown]
	v_fmamk_f32 v12, v49, 0xbf27a4f4, v75
	v_mul_f32_e32 v13, 0x3f68dda4, v39
	v_add_f32_e32 v15, v16, v18
	v_fma_f32 v16, 0xbf27a4f4, v36, -v76
	v_mul_f32_e32 v18, 0x3f68dda4, v45
	v_add_f32_e32 v3, v12, v3
	v_fmamk_f32 v12, v50, 0x3ed4b147, v13
	v_add_f32_e32 v78, v2, v14
	v_add_f32_e32 v2, v16, v15
	v_fma_f32 v14, 0x3ed4b147, v38, -v18
	v_fma_f32 v15, 0xbf75a155, v46, -v72
	v_add_f32_e32 v3, v12, v3
	v_mul_f32_e32 v12, 0xbf7d64f0, v41
	v_fmac_f32_e32 v74, 0xbf75a155, v32
	v_add_f32_e32 v2, v14, v2
	v_add_f32_e32 v14, v1, v15
	v_fma_f32 v15, 0x3f575c64, v47, -v73
	v_fmamk_f32 v16, v51, 0xbe11bafb, v12
	v_add_f32_e32 v19, v0, v74
	v_fmac_f32_e32 v17, 0x3f575c64, v33
	v_mul_f32_e32 v72, 0xbf7d64f0, v48
	v_add_f32_e32 v14, v15, v14
	v_fma_f32 v15, 0xbf27a4f4, v49, -v75
	v_add_f32_e32 v3, v16, v3
	v_add_f32_e32 v16, v17, v19
	v_fmac_f32_e32 v76, 0xbf27a4f4, v36
	v_mul_f32_e32 v73, 0xbf27a4f4, v46
	v_fma_f32 v17, 0xbe11bafb, v40, -v72
	v_add_f32_e32 v14, v15, v14
	v_fma_f32 v13, 0x3ed4b147, v50, -v13
	v_add_f32_e32 v15, v76, v16
	v_fmac_f32_e32 v18, 0x3ed4b147, v38
	v_fmamk_f32 v16, v35, 0x3f4178ce, v73
	v_mul_f32_e32 v74, 0xbe11bafb, v47
	v_mul_f32_e32 v75, 0xbf4178ce, v42
	v_add_f32_e32 v2, v17, v2
	v_add_f32_e32 v13, v13, v14
	;; [unrolled: 1-line block ×4, first 2 shown]
	v_fmamk_f32 v16, v34, 0xbf7d64f0, v74
	v_mul_f32_e32 v76, 0x3f575c64, v49
	v_fmamk_f32 v17, v32, 0xbf27a4f4, v75
	v_mul_f32_e32 v79, 0x3f7d64f0, v43
	v_mul_f32_e32 v80, 0xbf75a155, v50
	v_add_f32_e32 v15, v16, v15
	v_fmamk_f32 v16, v37, 0x3f0a6770, v76
	v_add_f32_e32 v17, v0, v17
	v_fmamk_f32 v18, v33, 0xbe11bafb, v79
	v_mul_f32_e32 v81, 0xbf0a6770, v44
	v_mul_f32_e32 v82, 0xbe903f40, v45
	v_add_f32_e32 v15, v16, v15
	v_fmamk_f32 v16, v39, 0x3e903f40, v80
	v_add_f32_e32 v17, v18, v17
	v_fmamk_f32 v18, v36, 0x3f575c64, v81
	v_fma_f32 v12, 0xbe11bafb, v51, -v12
	v_fmac_f32_e32 v72, 0xbe11bafb, v40
	v_mul_f32_e32 v83, 0x3ed4b147, v51
	v_add_f32_e32 v15, v16, v15
	v_add_f32_e32 v16, v18, v17
	v_mul_f32_e32 v17, 0xbf7d64f0, v35
	v_fmamk_f32 v18, v38, 0xbf75a155, v82
	v_add_f32_e32 v13, v12, v13
	v_fmamk_f32 v19, v41, 0xbf68dda4, v83
	v_mul_f32_e32 v84, 0x3e903f40, v34
	v_add_f32_e32 v12, v72, v14
	v_sub_f32_e32 v14, v70, v17
	v_add_f32_e32 v16, v18, v16
	v_mul_f32_e32 v18, 0xbe11bafb, v32
	v_add_f32_e32 v15, v19, v15
	v_sub_f32_e32 v17, v71, v84
	v_add_f32_e32 v14, v1, v14
	v_mul_f32_e32 v19, 0x3f68dda4, v37
	v_mul_f32_e32 v71, 0xbf75a155, v33
	v_add_f32_e32 v18, v18, v66
	v_mul_f32_e32 v70, 0x3f68dda4, v48
	v_add_f32_e32 v14, v17, v14
	v_sub_f32_e32 v17, v69, v19
	v_mul_f32_e32 v19, 0xbf0a6770, v39
	v_add_f32_e32 v65, v71, v65
	v_add_f32_e32 v18, v0, v18
	v_mul_f32_e32 v66, 0x3ed4b147, v36
	v_fmamk_f32 v69, v40, 0x3ed4b147, v70
	v_add_f32_e32 v17, v17, v14
	v_sub_f32_e32 v19, v68, v19
	v_add_f32_e32 v18, v65, v18
	v_add_f32_e32 v65, v66, v67
	v_mul_f32_e32 v66, 0x3f575c64, v38
	v_add_f32_e32 v14, v69, v16
	v_add_f32_e32 v16, v19, v17
	v_mul_f32_e32 v17, 0xbf4178ce, v41
	;; [unrolled: 3-line block ×3, first 2 shown]
	v_mul_f32_e32 v65, 0xbf27a4f4, v40
	v_sub_f32_e32 v17, v64, v17
	v_mul_f32_e32 v64, 0xbf4178ce, v34
	v_add_f32_e32 v18, v19, v18
	v_sub_f32_e32 v19, v61, v63
	v_add_f32_e32 v61, v65, v62
	v_mul_f32_e32 v62, 0x3ed4b147, v32
	v_add_f32_e32 v17, v17, v16
	v_sub_f32_e32 v60, v60, v64
	v_add_f32_e32 v19, v1, v19
	v_mul_f32_e32 v63, 0x3e903f40, v37
	v_mul_f32_e32 v64, 0xbf27a4f4, v33
	v_add_f32_e32 v16, v61, v18
	v_add_f32_e32 v18, v62, v58
	v_add_f32_e32 v19, v60, v19
	v_sub_f32_e32 v58, v59, v63
	v_add_f32_e32 v57, v64, v57
	v_mul_f32_e32 v59, 0x3f7d64f0, v39
	v_add_f32_e32 v18, v0, v18
	v_mul_f32_e32 v46, 0x3f575c64, v46
	v_mul_f32_e32 v60, 0xbf75a155, v36
	v_add_f32_e32 v19, v58, v19
	v_sub_f32_e32 v56, v56, v59
	v_add_f32_e32 v18, v57, v18
	v_fmamk_f32 v57, v35, 0x3f0a6770, v46
	v_mul_f32_e32 v47, 0x3ed4b147, v47
	v_add_f32_e32 v55, v60, v55
	v_add_f32_e32 v19, v56, v19
	v_mul_f32_e32 v56, 0xbe11bafb, v38
	v_add_f32_e32 v57, v1, v57
	v_fmamk_f32 v59, v34, 0x3f68dda4, v47
	v_mul_f32_e32 v49, 0xbe11bafb, v49
	v_mul_f32_e32 v58, 0x3f0a6770, v41
	v_add_f32_e32 v18, v55, v18
	v_add_f32_e32 v53, v56, v53
	;; [unrolled: 1-line block ×3, first 2 shown]
	v_fmamk_f32 v56, v37, 0x3f7d64f0, v49
	v_mul_f32_e32 v50, 0xbf27a4f4, v50
	v_mul_f32_e32 v57, 0xbf0a6770, v42
	v_sub_f32_e32 v54, v54, v58
	v_mul_f32_e32 v42, 0x3f575c64, v40
	v_add_f32_e32 v18, v53, v18
	v_add_f32_e32 v53, v56, v55
	v_fmamk_f32 v55, v39, 0x3f4178ce, v50
	v_fmamk_f32 v56, v32, 0x3f575c64, v57
	v_mul_f32_e32 v58, 0xbf68dda4, v43
	v_add_f32_e32 v42, v42, v52
	v_mul_f32_e32 v44, 0xbf7d64f0, v44
	v_add_f32_e32 v43, v55, v53
	v_add_f32_e32 v52, v0, v56
	v_fmamk_f32 v53, v33, 0x3ed4b147, v58
	v_add_f32_e32 v9, v77, v9
	v_add_f32_e32 v8, v78, v8
	v_fmac_f32_e32 v73, 0xbf4178ce, v35
	v_add_f32_e32 v18, v42, v18
	v_add_f32_e32 v42, v53, v52
	v_fmamk_f32 v52, v36, 0xbe11bafb, v44
	v_mul_f32_e32 v45, 0xbf4178ce, v45
	v_add_f32_e32 v9, v9, v11
	v_add_f32_e32 v8, v8, v10
	;; [unrolled: 1-line block ×3, first 2 shown]
	v_fmac_f32_e32 v74, 0x3f7d64f0, v34
	v_add_f32_e32 v42, v52, v42
	v_fmamk_f32 v11, v38, 0xbf27a4f4, v45
	v_mul_f32_e32 v48, 0xbe903f40, v48
	v_add_f32_e32 v5, v9, v5
	v_add_f32_e32 v4, v8, v4
	;; [unrolled: 1-line block ×3, first 2 shown]
	v_fmac_f32_e32 v76, 0xbf0a6770, v37
	v_add_f32_e32 v9, v11, v42
	v_fmamk_f32 v10, v40, 0xbf75a155, v48
	v_add_f32_e32 v5, v5, v7
	v_fma_f32 v7, 0xbf27a4f4, v32, -v75
	v_add_f32_e32 v4, v4, v6
	v_add_f32_e32 v6, v76, v8
	v_fmac_f32_e32 v46, 0xbf0a6770, v35
	v_fma_f32 v8, 0x3f575c64, v32, -v57
	v_add_f32_e32 v42, v10, v9
	v_add_f32_e32 v7, v0, v7
	v_fma_f32 v9, 0xbe11bafb, v33, -v79
	v_add_f32_e32 v1, v1, v46
	v_fmac_f32_e32 v47, 0xbf68dda4, v34
	v_add_f32_e32 v0, v0, v8
	v_fma_f32 v8, 0x3ed4b147, v33, -v58
	v_add_f32_e32 v7, v9, v7
	v_fma_f32 v9, 0x3f575c64, v36, -v81
	v_mul_f32_e32 v51, 0xbf75a155, v51
	v_add_f32_e32 v1, v47, v1
	v_fmac_f32_e32 v49, 0xbf7d64f0, v37
	v_add_f32_e32 v0, v8, v0
	v_fma_f32 v8, 0xbe11bafb, v36, -v44
	v_fmac_f32_e32 v80, 0xbe903f40, v39
	v_add_f32_e32 v7, v9, v7
	v_fma_f32 v9, 0xbf75a155, v38, -v82
	v_fmamk_f32 v55, v41, 0x3e903f40, v51
	v_add_f32_e32 v1, v49, v1
	v_fmac_f32_e32 v50, 0xbf4178ce, v39
	v_add_f32_e32 v0, v8, v0
	v_fma_f32 v8, 0xbf27a4f4, v38, -v45
	v_add_f32_e32 v6, v80, v6
	v_fmac_f32_e32 v83, 0x3f68dda4, v41
	v_add_f32_e32 v7, v9, v7
	v_fma_f32 v9, 0x3ed4b147, v40, -v70
	v_add_f32_e32 v43, v55, v43
	v_add_f32_e32 v5, v5, v29
	;; [unrolled: 1-line block ×4, first 2 shown]
	v_fmac_f32_e32 v51, 0xbe903f40, v41
	v_add_f32_e32 v8, v8, v0
	v_fma_f32 v11, 0xbf75a155, v40, -v48
	v_mad_u32_u24 v28, 0x50, v20, v30
	v_add_f32_e32 v19, v54, v19
	v_add_f32_e32 v1, v83, v6
	v_add_f32_e32 v0, v9, v7
	v_add_f32_e32 v7, v51, v10
	v_add_f32_e32 v6, v11, v8
	ds_write2_b64 v28, v[4:5], v[42:43] offset1:1
	ds_write2_b64 v28, v[18:19], v[16:17] offset0:2 offset1:3
	ds_write2_b64 v28, v[14:15], v[12:13] offset0:4 offset1:5
	;; [unrolled: 1-line block ×4, first 2 shown]
	ds_write_b64 v28, v[6:7] offset:80
.LBB0_19:
	s_or_b32 exec_lo, exec_lo, s1
	v_and_b32_e32 v19, 0xff, v20
	v_add_nc_u32_e32 v18, 0xa5, v20
	v_mov_b32_e32 v2, 0xba2f
	v_add_nc_u32_e32 v28, 0x14a, v20
	v_mov_b32_e32 v16, 3
	v_mul_lo_u16 v0, 0x75, v19
	s_waitcnt lgkmcnt(0)
	v_mul_u32_u24_sdwa v17, v18, v2 dst_sel:DWORD dst_unused:UNUSED_PAD src0_sel:WORD_0 src1_sel:DWORD
	v_mul_u32_u24_sdwa v29, v28, v2 dst_sel:DWORD dst_unused:UNUSED_PAD src0_sel:WORD_0 src1_sel:DWORD
	s_barrier
	v_lshrrev_b16 v0, 8, v0
	buffer_gl0_inv
	v_lshrrev_b32_e32 v32, 19, v17
	v_lshrrev_b32_e32 v33, 19, v29
	v_mov_b32_e32 v44, 0xb0
	v_sub_nc_u16 v1, v20, v0
	v_add_nc_u32_e32 v46, 0x1a00, v30
	v_mul_u32_u24_e32 v45, 0xb0, v32
	v_mul_lo_u16 v3, v33, 11
	v_mul_u32_u24_e32 v47, 0xb0, v33
	v_lshrrev_b16 v1, 1, v1
	v_cmp_gt_u32_e64 s0, 0x6e, v20
	v_sub_nc_u16 v3, v28, v3
	v_and_b32_e32 v1, 0x7f, v1
	v_lshlrev_b32_sdwa v42, v16, v3 dst_sel:DWORD dst_unused:UNUSED_PAD src0_sel:DWORD src1_sel:WORD_0
	v_add_nc_u16 v0, v1, v0
	v_add_nc_u32_e32 v1, 0x1ef, v20
	v_lshrrev_b16 v39, 3, v0
	v_mul_u32_u24_sdwa v0, v1, v2 dst_sel:DWORD dst_unused:UNUSED_PAD src0_sel:WORD_0 src1_sel:DWORD
	v_mul_lo_u16 v2, v39, 11
	v_lshrrev_b32_e32 v34, 19, v0
	v_mul_lo_u16 v0, v32, 11
	v_mul_u32_u24_sdwa v39, v39, v44 dst_sel:DWORD dst_unused:UNUSED_PAD src0_sel:WORD_0 src1_sel:DWORD
	v_sub_nc_u16 v2, v20, v2
	v_mul_lo_u16 v4, v34, 11
	v_sub_nc_u16 v0, v18, v0
	v_mul_u32_u24_e32 v48, 0xb0, v34
	v_lshlrev_b32_sdwa v40, v16, v2 dst_sel:DWORD dst_unused:UNUSED_PAD src0_sel:DWORD src1_sel:BYTE_0
	v_sub_nc_u16 v1, v1, v4
	v_lshlrev_b32_sdwa v41, v16, v0 dst_sel:DWORD dst_unused:UNUSED_PAD src0_sel:DWORD src1_sel:WORD_0
	v_add_nc_u32_e32 v4, 0x1e00, v30
	global_load_dwordx2 v[12:13], v40, s[8:9]
	v_lshlrev_b32_sdwa v43, v16, v1 dst_sel:DWORD dst_unused:UNUSED_PAD src0_sel:DWORD src1_sel:WORD_0
	v_add3_u32 v39, 0, v39, v40
	s_clause 0x2
	global_load_dwordx2 v[14:15], v41, s[8:9]
	global_load_dwordx2 v[35:36], v42, s[8:9]
	;; [unrolled: 1-line block ×3, first 2 shown]
	ds_read2_b64 v[0:3], v31 offset0:20 offset1:185
	ds_read2_b64 v[4:7], v4 offset0:30 offset1:195
	ds_read2_b64 v[8:11], v30 offset1:165
	v_add_nc_u32_e32 v31, 0x800, v30
	v_add3_u32 v41, 0, v45, v41
	v_add3_u32 v42, 0, v47, v42
	;; [unrolled: 1-line block ×3, first 2 shown]
	ds_read2_b64 v[31:34], v31 offset0:74 offset1:239
	s_waitcnt vmcnt(0) lgkmcnt(0)
	s_barrier
	buffer_gl0_inv
	v_mul_f32_e32 v40, v13, v1
	v_mul_f32_e32 v13, v13, v0
	;; [unrolled: 1-line block ×8, first 2 shown]
	v_fmac_f32_e32 v40, v12, v0
	v_fma_f32 v1, v12, v1, -v13
	v_fmac_f32_e32 v44, v14, v2
	v_fma_f32 v3, v14, v3, -v15
	;; [unrolled: 2-line block ×4, first 2 shown]
	v_sub_f32_e32 v0, v8, v40
	v_sub_f32_e32 v1, v9, v1
	;; [unrolled: 1-line block ×8, first 2 shown]
	v_fma_f32 v6, v8, 2.0, -v0
	v_fma_f32 v7, v9, 2.0, -v1
	v_fma_f32 v8, v10, 2.0, -v2
	v_fma_f32 v9, v11, 2.0, -v3
	v_fma_f32 v10, v31, 2.0, -v4
	v_fma_f32 v11, v32, 2.0, -v5
	v_fma_f32 v12, v33, 2.0, -v14
	v_fma_f32 v13, v34, 2.0, -v15
	ds_write2_b64 v39, v[6:7], v[0:1] offset1:11
	ds_write2_b64 v41, v[8:9], v[2:3] offset1:11
	;; [unrolled: 1-line block ×4, first 2 shown]
	s_waitcnt lgkmcnt(0)
	s_barrier
	buffer_gl0_inv
	ds_read2_b64 v[0:3], v30 offset1:165
	ds_read2_b64 v[8:11], v21 offset0:56 offset1:221
	ds_read2_b64 v[4:7], v46 offset0:48 offset1:213
	s_and_saveexec_b32 s1, s0
	s_cbranch_execz .LBB0_21
; %bb.20:
	ds_read_b64 v[12:13], v30 offset:2640
	ds_read_b64 v[14:15], v30 offset:6160
	;; [unrolled: 1-line block ×3, first 2 shown]
.LBB0_21:
	s_or_b32 exec_lo, exec_lo, s1
	v_lshrrev_b32_e32 v21, 20, v29
	v_lshrrev_b16 v29, 1, v20
	v_mov_b32_e32 v35, 4
	v_lshrrev_b32_e32 v17, 20, v17
	v_mov_b32_e32 v45, 0x210
	v_mul_lo_u16 v31, v21, 22
	v_and_b32_e32 v29, 0x7f, v29
	v_mul_lo_u16 v37, v17, 22
	v_mul_u32_u24_e32 v17, 0x210, v17
	v_sub_nc_u16 v28, v28, v31
	v_mul_lo_u16 v29, 0xbb, v29
	v_sub_nc_u16 v44, v18, v37
	v_lshlrev_b32_sdwa v31, v35, v28 dst_sel:DWORD dst_unused:UNUSED_PAD src0_sel:DWORD src1_sel:WORD_0
	v_lshrrev_b16 v29, 11, v29
	v_lshlrev_b32_sdwa v39, v35, v44 dst_sel:DWORD dst_unused:UNUSED_PAD src0_sel:DWORD src1_sel:WORD_0
	v_lshlrev_b32_sdwa v44, v16, v44 dst_sel:DWORD dst_unused:UNUSED_PAD src0_sel:DWORD src1_sel:WORD_0
	global_load_dwordx4 v[31:34], v31, s[8:9] offset:88
	v_mul_lo_u16 v36, v29, 22
	v_mul_u32_u24_sdwa v29, v29, v45 dst_sel:DWORD dst_unused:UNUSED_PAD src0_sel:WORD_0 src1_sel:DWORD
	v_add3_u32 v44, 0, v17, v44
	v_sub_nc_u16 v43, v20, v36
	v_lshlrev_b32_sdwa v36, v35, v43 dst_sel:DWORD dst_unused:UNUSED_PAD src0_sel:DWORD src1_sel:BYTE_0
	v_lshlrev_b32_sdwa v16, v16, v43 dst_sel:DWORD dst_unused:UNUSED_PAD src0_sel:DWORD src1_sel:BYTE_0
	s_clause 0x1
	global_load_dwordx4 v[35:38], v36, s[8:9] offset:88
	global_load_dwordx4 v[39:42], v39, s[8:9] offset:88
	s_waitcnt vmcnt(0) lgkmcnt(0)
	s_barrier
	buffer_gl0_inv
	v_mul_f32_e32 v17, v15, v32
	v_mul_f32_e32 v43, v27, v34
	;; [unrolled: 1-line block ×4, first 2 shown]
	v_fmac_f32_e32 v17, v14, v31
	v_fmac_f32_e32 v43, v26, v33
	v_fma_f32 v14, v15, v31, -v32
	v_fma_f32 v15, v27, v33, -v34
	v_add3_u32 v26, 0, v29, v16
	v_add_f32_e32 v16, v12, v17
	v_add_f32_e32 v27, v17, v43
	v_sub_f32_e32 v33, v17, v43
	v_add_f32_e32 v31, v13, v14
	v_add_f32_e32 v32, v14, v15
	v_mul_f32_e32 v17, v36, v9
	v_mul_f32_e32 v34, v36, v8
	;; [unrolled: 1-line block ×8, first 2 shown]
	v_fmac_f32_e32 v17, v35, v8
	v_fma_f32 v8, v35, v9, -v34
	v_fmac_f32_e32 v36, v37, v4
	v_fma_f32 v9, v37, v5, -v38
	;; [unrolled: 2-line block ×4, first 2 shown]
	v_sub_f32_e32 v29, v14, v15
	v_add_f32_e32 v14, v16, v43
	v_fmac_f32_e32 v12, -0.5, v27
	v_add_f32_e32 v15, v31, v15
	v_fmac_f32_e32 v13, -0.5, v32
	v_add_f32_e32 v7, v17, v36
	v_sub_f32_e32 v16, v8, v9
	v_add_f32_e32 v27, v8, v1
	v_add_f32_e32 v8, v8, v9
	;; [unrolled: 1-line block ×3, first 2 shown]
	v_sub_f32_e32 v32, v10, v11
	v_add_f32_e32 v34, v3, v10
	v_add_f32_e32 v10, v10, v11
	v_fmamk_f32 v4, v29, 0xbf5db3d7, v12
	v_fmac_f32_e32 v12, 0x3f5db3d7, v29
	v_add_f32_e32 v6, v17, v0
	v_sub_f32_e32 v17, v17, v36
	v_add_f32_e32 v29, v2, v45
	v_sub_f32_e32 v35, v45, v46
	v_fma_f32 v0, -0.5, v7, v0
	v_fma_f32 v1, -0.5, v8, v1
	v_fma_f32 v2, -0.5, v31, v2
	v_fmac_f32_e32 v3, -0.5, v10
	v_fmamk_f32 v5, v33, 0x3f5db3d7, v13
	v_add_f32_e32 v6, v6, v36
	v_add_f32_e32 v7, v27, v9
	;; [unrolled: 1-line block ×3, first 2 shown]
	v_fmamk_f32 v10, v16, 0xbf5db3d7, v0
	v_fmac_f32_e32 v0, 0x3f5db3d7, v16
	v_fmamk_f32 v11, v17, 0x3f5db3d7, v1
	v_fmac_f32_e32 v1, 0xbf5db3d7, v17
	;; [unrolled: 2-line block ×4, first 2 shown]
	v_fmac_f32_e32 v13, 0xbf5db3d7, v33
	v_add_f32_e32 v8, v29, v46
	ds_write2_b64 v26, v[6:7], v[10:11] offset1:22
	ds_write_b64 v26, v[0:1] offset:352
	ds_write2_b64 v44, v[8:9], v[16:17] offset1:22
	ds_write_b64 v44, v[2:3] offset:352
	s_and_saveexec_b32 s1, s0
	s_cbranch_execz .LBB0_23
; %bb.22:
	v_mov_b32_e32 v0, 3
	v_mul_lo_u16 v1, 0x42, v21
	v_lshlrev_b32_sdwa v6, v0, v28 dst_sel:DWORD dst_unused:UNUSED_PAD src0_sel:DWORD src1_sel:WORD_0
	v_lshlrev_b32_sdwa v0, v0, v1 dst_sel:DWORD dst_unused:UNUSED_PAD src0_sel:DWORD src1_sel:WORD_0
	v_add3_u32 v0, 0, v6, v0
	ds_write2_b64 v0, v[14:15], v[4:5] offset1:22
	ds_write_b64 v0, v[12:13] offset:352
.LBB0_23:
	s_or_b32 exec_lo, exec_lo, s1
	s_waitcnt lgkmcnt(0)
	s_barrier
	buffer_gl0_inv
	ds_read_b64 v[0:1], v30
	ds_read_b64 v[16:17], v30 offset:2112
	ds_read_b64 v[10:11], v30 offset:4224
	ds_read_b64 v[6:7], v30 offset:6336
	ds_read_b64 v[8:9], v30 offset:8448
	v_cmp_gt_u32_e64 s0, 0x63, v20
	s_and_saveexec_b32 s1, s0
	s_cbranch_execz .LBB0_25
; %bb.24:
	ds_read_b64 v[2:3], v30 offset:1320
	ds_read_b64 v[14:15], v30 offset:3432
	;; [unrolled: 1-line block ×5, first 2 shown]
.LBB0_25:
	s_or_b32 exec_lo, exec_lo, s1
	v_mul_lo_u16 v19, 0xf9, v19
	v_mov_b32_e32 v37, 0xa50
	v_lshrrev_b16 v35, 14, v19
	v_mov_b32_e32 v19, 5
	v_mul_lo_u16 v21, 0x42, v35
	v_mul_u32_u24_sdwa v35, v35, v37 dst_sel:DWORD dst_unused:UNUSED_PAD src0_sel:WORD_0 src1_sel:DWORD
	v_sub_nc_u16 v36, v20, v21
	v_lshlrev_b32_sdwa v21, v19, v36 dst_sel:DWORD dst_unused:UNUSED_PAD src0_sel:DWORD src1_sel:BYTE_0
	s_clause 0x1
	global_load_dwordx4 v[26:29], v21, s[8:9] offset:440
	global_load_dwordx4 v[31:34], v21, s[8:9] offset:456
	v_mov_b32_e32 v21, 3
	s_waitcnt vmcnt(0) lgkmcnt(0)
	s_barrier
	buffer_gl0_inv
	v_lshlrev_b32_sdwa v36, v21, v36 dst_sel:DWORD dst_unused:UNUSED_PAD src0_sel:DWORD src1_sel:BYTE_0
	v_add3_u32 v35, 0, v35, v36
	v_mul_f32_e32 v36, v27, v17
	v_mul_f32_e32 v27, v27, v16
	;; [unrolled: 1-line block ×8, first 2 shown]
	v_fmac_f32_e32 v36, v26, v16
	v_fma_f32 v16, v26, v17, -v27
	v_fmac_f32_e32 v37, v28, v10
	v_fma_f32 v10, v28, v11, -v29
	;; [unrolled: 2-line block ×3, first 2 shown]
	v_fma_f32 v9, v31, v7, -v32
	v_fmac_f32_e32 v39, v33, v8
	v_add_f32_e32 v6, v0, v36
	v_add_f32_e32 v7, v37, v38
	v_sub_f32_e32 v8, v36, v37
	v_add_f32_e32 v32, v1, v16
	v_sub_f32_e32 v11, v39, v38
	v_add_f32_e32 v33, v10, v9
	v_add_f32_e32 v28, v36, v39
	;; [unrolled: 1-line block ×3, first 2 shown]
	v_sub_f32_e32 v26, v16, v17
	v_sub_f32_e32 v29, v37, v36
	;; [unrolled: 1-line block ×4, first 2 shown]
	v_add_f32_e32 v37, v6, v37
	v_fma_f32 v6, -0.5, v7, v0
	v_add_f32_e32 v44, v8, v11
	v_add_f32_e32 v11, v32, v10
	v_fma_f32 v7, -0.5, v33, v1
	v_sub_f32_e32 v27, v10, v9
	v_fma_f32 v0, -0.5, v28, v0
	v_fmac_f32_e32 v1, -0.5, v42
	v_sub_f32_e32 v31, v38, v39
	v_sub_f32_e32 v40, v16, v10
	;; [unrolled: 1-line block ×5, first 2 shown]
	v_fmamk_f32 v8, v26, 0xbf737871, v6
	v_add_f32_e32 v32, v11, v9
	v_fmamk_f32 v9, v34, 0x3f737871, v7
	v_fmamk_f32 v10, v27, 0x3f737871, v0
	v_fmac_f32_e32 v0, 0xbf737871, v27
	v_fmamk_f32 v11, v36, 0xbf737871, v1
	v_fmac_f32_e32 v1, 0x3f737871, v36
	v_fmac_f32_e32 v6, 0x3f737871, v26
	;; [unrolled: 1-line block ×3, first 2 shown]
	v_add_f32_e32 v28, v29, v31
	v_add_f32_e32 v29, v40, v41
	;; [unrolled: 1-line block ×4, first 2 shown]
	v_fmac_f32_e32 v8, 0xbf167918, v27
	v_fmac_f32_e32 v9, 0x3f167918, v36
	;; [unrolled: 1-line block ×8, first 2 shown]
	v_add_f32_e32 v16, v16, v39
	v_add_f32_e32 v17, v32, v17
	v_fmac_f32_e32 v8, 0x3e9e377a, v44
	v_fmac_f32_e32 v9, 0x3e9e377a, v29
	;; [unrolled: 1-line block ×8, first 2 shown]
	ds_write2_b64 v35, v[16:17], v[8:9] offset1:66
	ds_write2_b64 v35, v[10:11], v[0:1] offset0:132 offset1:198
	ds_write_b64 v35, v[6:7] offset:2112
	s_and_saveexec_b32 s1, s0
	s_cbranch_execz .LBB0_27
; %bb.26:
	v_mov_b32_e32 v0, 0xf83f
	v_mul_u32_u24_sdwa v0, v18, v0 dst_sel:DWORD dst_unused:UNUSED_PAD src0_sel:WORD_0 src1_sel:DWORD
	v_lshrrev_b32_e32 v0, 22, v0
	v_mul_lo_u16 v1, 0x42, v0
	v_mul_lo_u16 v0, 0x14a, v0
	v_sub_nc_u16 v1, v18, v1
	v_lshlrev_b32_sdwa v0, v21, v0 dst_sel:DWORD dst_unused:UNUSED_PAD src0_sel:DWORD src1_sel:WORD_0
	v_lshlrev_b32_sdwa v10, v19, v1 dst_sel:DWORD dst_unused:UNUSED_PAD src0_sel:DWORD src1_sel:WORD_0
	;; [unrolled: 1-line block ×3, first 2 shown]
	s_clause 0x1
	global_load_dwordx4 v[6:9], v10, s[8:9] offset:440
	global_load_dwordx4 v[16:19], v10, s[8:9] offset:456
	s_waitcnt vmcnt(1)
	v_mul_f32_e32 v10, v14, v7
	v_mul_f32_e32 v11, v4, v9
	s_waitcnt vmcnt(0)
	v_mul_f32_e32 v21, v24, v19
	v_mul_f32_e32 v26, v12, v17
	;; [unrolled: 1-line block ×6, first 2 shown]
	v_fma_f32 v10, v15, v6, -v10
	v_fma_f32 v5, v5, v8, -v11
	;; [unrolled: 1-line block ×4, first 2 shown]
	v_fmac_f32_e32 v9, v4, v8
	v_fmac_f32_e32 v17, v12, v16
	;; [unrolled: 1-line block ×4, first 2 shown]
	v_add3_u32 v12, 0, v1, v0
	v_sub_f32_e32 v0, v10, v5
	v_sub_f32_e32 v1, v11, v13
	v_add_f32_e32 v4, v5, v13
	v_add_f32_e32 v16, v9, v17
	v_sub_f32_e32 v15, v7, v19
	v_sub_f32_e32 v6, v7, v9
	;; [unrolled: 1-line block ×4, first 2 shown]
	v_add_f32_e32 v24, v3, v10
	v_add_f32_e32 v25, v2, v7
	v_sub_f32_e32 v26, v5, v10
	v_add_f32_e32 v10, v10, v11
	v_sub_f32_e32 v28, v9, v7
	v_add_f32_e32 v7, v7, v19
	v_add_f32_e32 v31, v0, v1
	v_fma_f32 v1, -0.5, v4, v3
	v_fma_f32 v0, -0.5, v16, v2
	v_sub_f32_e32 v14, v9, v17
	v_sub_f32_e32 v21, v5, v13
	v_add_f32_e32 v32, v6, v8
	v_add_f32_e32 v6, v24, v5
	v_fmac_f32_e32 v3, -0.5, v10
	v_fmac_f32_e32 v2, -0.5, v7
	v_add_f32_e32 v8, v25, v9
	v_fmamk_f32 v5, v15, 0x3f737871, v1
	v_fmamk_f32 v4, v18, 0xbf737871, v0
	v_sub_f32_e32 v27, v13, v11
	v_sub_f32_e32 v29, v17, v19
	v_add_f32_e32 v9, v6, v13
	v_fmamk_f32 v7, v14, 0x3f737871, v3
	v_fmac_f32_e32 v3, 0xbf737871, v14
	v_fmamk_f32 v6, v21, 0xbf737871, v2
	v_fmac_f32_e32 v2, 0x3f737871, v21
	v_fmac_f32_e32 v1, 0xbf737871, v15
	;; [unrolled: 1-line block ×3, first 2 shown]
	v_add_f32_e32 v8, v8, v17
	v_fmac_f32_e32 v5, 0x3f167918, v14
	v_fmac_f32_e32 v4, 0xbf167918, v21
	v_add_f32_e32 v16, v26, v27
	v_add_f32_e32 v10, v28, v29
	v_fmac_f32_e32 v7, 0xbf167918, v15
	v_fmac_f32_e32 v3, 0x3f167918, v15
	;; [unrolled: 1-line block ×6, first 2 shown]
	v_add_f32_e32 v9, v9, v11
	v_add_f32_e32 v8, v8, v19
	v_fmac_f32_e32 v5, 0x3e9e377a, v31
	v_fmac_f32_e32 v4, 0x3e9e377a, v32
	;; [unrolled: 1-line block ×8, first 2 shown]
	ds_write2_b64 v12, v[8:9], v[4:5] offset1:66
	ds_write2_b64 v12, v[2:3], v[6:7] offset0:132 offset1:198
	ds_write_b64 v12, v[0:1] offset:2112
.LBB0_27:
	s_or_b32 exec_lo, exec_lo, s1
	v_mul_u32_u24_e32 v0, 3, v20
	s_waitcnt lgkmcnt(0)
	s_barrier
	buffer_gl0_inv
	v_add_nc_u32_e32 v21, 0x800, v30
	v_lshlrev_b32_e32 v0, 3, v0
	v_add_nc_u32_e32 v33, 0x1400, v30
	v_add_nc_u32_e32 v16, 0x2400, v30
	v_add_nc_u32_e32 v34, 0x1e00, v30
	v_add_co_u32 v6, s0, s8, v0
	v_add_co_ci_u32_e64 v7, null, s9, 0, s0
	v_add_co_u32 v0, s0, 0x800, v6
	v_add_co_ci_u32_e64 v1, s0, 0, v7, s0
	v_add_co_u32 v4, s0, 0x9f8, v6
	v_add_co_ci_u32_e64 v5, s0, 0, v7, s0
	s_clause 0x1
	global_load_dwordx4 v[0:3], v[0:1], off offset:504
	global_load_dwordx2 v[24:25], v[4:5], off offset:16
	v_add_co_u32 v4, s0, 0x1800, v6
	v_add_co_ci_u32_e64 v5, s0, 0, v7, s0
	v_add_co_u32 v8, s0, 0x1970, v6
	v_add_co_ci_u32_e64 v9, s0, 0, v7, s0
	s_clause 0x1
	global_load_dwordx4 v[4:7], v[4:5], off offset:368
	global_load_dwordx2 v[26:27], v[8:9], off offset:16
	ds_read2_b64 v[8:11], v21 offset0:74 offset1:239
	ds_read2_b64 v[12:15], v33 offset0:20 offset1:185
	ds_read_b64 v[28:29], v30 offset:7920
	ds_read2_b32 v[31:32], v16 offset0:6 offset1:7
	ds_read2_b64 v[16:19], v30 offset1:165
	s_waitcnt vmcnt(0) lgkmcnt(0)
	s_barrier
	buffer_gl0_inv
	v_mul_f32_e32 v35, v1, v9
	v_mul_f32_e32 v1, v1, v8
	;; [unrolled: 1-line block ×6, first 2 shown]
	v_fmac_f32_e32 v35, v0, v8
	v_fma_f32 v0, v0, v9, -v1
	v_fmac_f32_e32 v36, v2, v12
	v_fma_f32 v1, v2, v13, -v3
	v_fmac_f32_e32 v37, v24, v28
	v_mul_f32_e32 v38, v5, v11
	v_mul_f32_e32 v5, v5, v10
	;; [unrolled: 1-line block ×6, first 2 shown]
	v_fma_f32 v2, v24, v29, -v25
	v_fmac_f32_e32 v38, v4, v10
	v_fma_f32 v3, v4, v11, -v5
	v_fmac_f32_e32 v39, v6, v14
	;; [unrolled: 2-line block ×3, first 2 shown]
	v_fma_f32 v5, v32, v26, -v27
	v_sub_f32_e32 v6, v16, v36
	v_sub_f32_e32 v7, v17, v1
	;; [unrolled: 1-line block ×8, first 2 shown]
	v_fma_f32 v12, v16, 2.0, -v6
	v_fma_f32 v13, v17, 2.0, -v7
	;; [unrolled: 1-line block ×8, first 2 shown]
	v_add_f32_e32 v0, v6, v2
	v_sub_f32_e32 v1, v7, v1
	v_add_f32_e32 v2, v10, v5
	v_sub_f32_e32 v3, v11, v4
	v_sub_f32_e32 v4, v12, v8
	;; [unrolled: 1-line block ×5, first 2 shown]
	v_fma_f32 v6, v6, 2.0, -v0
	v_fma_f32 v7, v7, 2.0, -v1
	;; [unrolled: 1-line block ×8, first 2 shown]
	ds_write2_b64 v34, v[0:1], v[2:3] offset0:30 offset1:195
	ds_write2_b64 v21, v[6:7], v[10:11] offset0:74 offset1:239
	;; [unrolled: 1-line block ×3, first 2 shown]
	ds_write2_b64 v30, v[12:13], v[14:15] offset1:165
	s_waitcnt lgkmcnt(0)
	s_barrier
	buffer_gl0_inv
	s_and_saveexec_b32 s0, vcc_lo
	s_cbranch_execz .LBB0_29
; %bb.28:
	v_lshl_add_u32 v16, v20, 3, 0
	v_mov_b32_e32 v21, 0
	v_add_nc_u32_e32 v4, 0xa5, v20
	v_add_co_u32 v22, vcc_lo, s2, v22
	v_add_nc_u32_e32 v6, 0x800, v16
	v_mov_b32_e32 v5, v21
	ds_read2_b64 v[0:3], v16 offset1:165
	v_lshlrev_b64 v[8:9], 3, v[20:21]
	v_add_nc_u32_e32 v12, 0x14a, v20
	v_mov_b32_e32 v13, v21
	v_lshlrev_b64 v[10:11], 3, v[4:5]
	ds_read2_b64 v[4:7], v6 offset0:74 offset1:239
	v_add_co_ci_u32_e32 v23, vcc_lo, s3, v23, vcc_lo
	v_add_co_u32 v8, vcc_lo, v22, v8
	v_lshlrev_b64 v[12:13], 3, v[12:13]
	v_add_co_ci_u32_e32 v9, vcc_lo, v23, v9, vcc_lo
	v_add_co_u32 v10, vcc_lo, v22, v10
	v_add_co_ci_u32_e32 v11, vcc_lo, v23, v11, vcc_lo
	v_add_co_u32 v12, vcc_lo, v22, v12
	v_add_nc_u32_e32 v14, 0x1ef, v20
	v_mov_b32_e32 v15, v21
	v_add_co_ci_u32_e32 v13, vcc_lo, v23, v13, vcc_lo
	s_waitcnt lgkmcnt(1)
	global_store_dwordx2 v[8:9], v[0:1], off
	global_store_dwordx2 v[10:11], v[2:3], off
	s_waitcnt lgkmcnt(0)
	global_store_dwordx2 v[12:13], v[4:5], off
	v_lshlrev_b64 v[0:1], 3, v[14:15]
	v_add_nc_u32_e32 v2, 0x1400, v16
	v_add_nc_u32_e32 v4, 0x294, v20
	v_mov_b32_e32 v5, v21
	v_add_nc_u32_e32 v8, 0x339, v20
	v_mov_b32_e32 v9, v21
	v_add_nc_u32_e32 v10, 0x1e00, v16
	v_add_co_u32 v12, vcc_lo, v22, v0
	v_add_co_ci_u32_e32 v13, vcc_lo, v23, v1, vcc_lo
	ds_read2_b64 v[0:3], v2 offset0:20 offset1:185
	v_lshlrev_b64 v[4:5], 3, v[4:5]
	v_lshlrev_b64 v[14:15], 3, v[8:9]
	v_add_nc_u32_e32 v16, 0x3de, v20
	v_mov_b32_e32 v17, v21
	ds_read2_b64 v[8:11], v10 offset0:30 offset1:195
	v_add_nc_u32_e32 v20, 0x483, v20
	v_add_co_u32 v4, vcc_lo, v22, v4
	v_lshlrev_b64 v[16:17], 3, v[16:17]
	v_add_co_ci_u32_e32 v5, vcc_lo, v23, v5, vcc_lo
	v_add_co_u32 v14, vcc_lo, v22, v14
	v_lshlrev_b64 v[18:19], 3, v[20:21]
	v_add_co_ci_u32_e32 v15, vcc_lo, v23, v15, vcc_lo
	v_add_co_u32 v16, vcc_lo, v22, v16
	v_add_co_ci_u32_e32 v17, vcc_lo, v23, v17, vcc_lo
	v_add_co_u32 v18, vcc_lo, v22, v18
	v_add_co_ci_u32_e32 v19, vcc_lo, v23, v19, vcc_lo
	global_store_dwordx2 v[12:13], v[6:7], off
	s_waitcnt lgkmcnt(1)
	global_store_dwordx2 v[4:5], v[0:1], off
	global_store_dwordx2 v[14:15], v[2:3], off
	s_waitcnt lgkmcnt(0)
	global_store_dwordx2 v[16:17], v[8:9], off
	global_store_dwordx2 v[18:19], v[10:11], off
.LBB0_29:
	s_endpgm
	.section	.rodata,"a",@progbits
	.p2align	6, 0x0
	.amdhsa_kernel fft_rtc_back_len1320_factors_11_2_3_5_4_wgs_165_tpt_165_sp_ip_CI_unitstride_sbrr_C2R_dirReg
		.amdhsa_group_segment_fixed_size 0
		.amdhsa_private_segment_fixed_size 0
		.amdhsa_kernarg_size 88
		.amdhsa_user_sgpr_count 6
		.amdhsa_user_sgpr_private_segment_buffer 1
		.amdhsa_user_sgpr_dispatch_ptr 0
		.amdhsa_user_sgpr_queue_ptr 0
		.amdhsa_user_sgpr_kernarg_segment_ptr 1
		.amdhsa_user_sgpr_dispatch_id 0
		.amdhsa_user_sgpr_flat_scratch_init 0
		.amdhsa_user_sgpr_private_segment_size 0
		.amdhsa_wavefront_size32 1
		.amdhsa_uses_dynamic_stack 0
		.amdhsa_system_sgpr_private_segment_wavefront_offset 0
		.amdhsa_system_sgpr_workgroup_id_x 1
		.amdhsa_system_sgpr_workgroup_id_y 0
		.amdhsa_system_sgpr_workgroup_id_z 0
		.amdhsa_system_sgpr_workgroup_info 0
		.amdhsa_system_vgpr_workitem_id 0
		.amdhsa_next_free_vgpr 86
		.amdhsa_next_free_sgpr 21
		.amdhsa_reserve_vcc 1
		.amdhsa_reserve_flat_scratch 0
		.amdhsa_float_round_mode_32 0
		.amdhsa_float_round_mode_16_64 0
		.amdhsa_float_denorm_mode_32 3
		.amdhsa_float_denorm_mode_16_64 3
		.amdhsa_dx10_clamp 1
		.amdhsa_ieee_mode 1
		.amdhsa_fp16_overflow 0
		.amdhsa_workgroup_processor_mode 1
		.amdhsa_memory_ordered 1
		.amdhsa_forward_progress 0
		.amdhsa_shared_vgpr_count 0
		.amdhsa_exception_fp_ieee_invalid_op 0
		.amdhsa_exception_fp_denorm_src 0
		.amdhsa_exception_fp_ieee_div_zero 0
		.amdhsa_exception_fp_ieee_overflow 0
		.amdhsa_exception_fp_ieee_underflow 0
		.amdhsa_exception_fp_ieee_inexact 0
		.amdhsa_exception_int_div_zero 0
	.end_amdhsa_kernel
	.text
.Lfunc_end0:
	.size	fft_rtc_back_len1320_factors_11_2_3_5_4_wgs_165_tpt_165_sp_ip_CI_unitstride_sbrr_C2R_dirReg, .Lfunc_end0-fft_rtc_back_len1320_factors_11_2_3_5_4_wgs_165_tpt_165_sp_ip_CI_unitstride_sbrr_C2R_dirReg
                                        ; -- End function
	.section	.AMDGPU.csdata,"",@progbits
; Kernel info:
; codeLenInByte = 7992
; NumSgprs: 23
; NumVgprs: 86
; ScratchSize: 0
; MemoryBound: 0
; FloatMode: 240
; IeeeMode: 1
; LDSByteSize: 0 bytes/workgroup (compile time only)
; SGPRBlocks: 2
; VGPRBlocks: 10
; NumSGPRsForWavesPerEU: 23
; NumVGPRsForWavesPerEU: 86
; Occupancy: 10
; WaveLimiterHint : 1
; COMPUTE_PGM_RSRC2:SCRATCH_EN: 0
; COMPUTE_PGM_RSRC2:USER_SGPR: 6
; COMPUTE_PGM_RSRC2:TRAP_HANDLER: 0
; COMPUTE_PGM_RSRC2:TGID_X_EN: 1
; COMPUTE_PGM_RSRC2:TGID_Y_EN: 0
; COMPUTE_PGM_RSRC2:TGID_Z_EN: 0
; COMPUTE_PGM_RSRC2:TIDIG_COMP_CNT: 0
	.text
	.p2alignl 6, 3214868480
	.fill 48, 4, 3214868480
	.type	__hip_cuid_d06fb4dc1e7eb287,@object ; @__hip_cuid_d06fb4dc1e7eb287
	.section	.bss,"aw",@nobits
	.globl	__hip_cuid_d06fb4dc1e7eb287
__hip_cuid_d06fb4dc1e7eb287:
	.byte	0                               ; 0x0
	.size	__hip_cuid_d06fb4dc1e7eb287, 1

	.ident	"AMD clang version 19.0.0git (https://github.com/RadeonOpenCompute/llvm-project roc-6.4.0 25133 c7fe45cf4b819c5991fe208aaa96edf142730f1d)"
	.section	".note.GNU-stack","",@progbits
	.addrsig
	.addrsig_sym __hip_cuid_d06fb4dc1e7eb287
	.amdgpu_metadata
---
amdhsa.kernels:
  - .args:
      - .actual_access:  read_only
        .address_space:  global
        .offset:         0
        .size:           8
        .value_kind:     global_buffer
      - .offset:         8
        .size:           8
        .value_kind:     by_value
      - .actual_access:  read_only
        .address_space:  global
        .offset:         16
        .size:           8
        .value_kind:     global_buffer
      - .actual_access:  read_only
        .address_space:  global
        .offset:         24
        .size:           8
        .value_kind:     global_buffer
      - .offset:         32
        .size:           8
        .value_kind:     by_value
      - .actual_access:  read_only
        .address_space:  global
        .offset:         40
        .size:           8
        .value_kind:     global_buffer
      - .actual_access:  read_only
        .address_space:  global
        .offset:         48
        .size:           8
        .value_kind:     global_buffer
      - .offset:         56
        .size:           4
        .value_kind:     by_value
      - .actual_access:  read_only
        .address_space:  global
        .offset:         64
        .size:           8
        .value_kind:     global_buffer
      - .actual_access:  read_only
        .address_space:  global
        .offset:         72
        .size:           8
        .value_kind:     global_buffer
      - .address_space:  global
        .offset:         80
        .size:           8
        .value_kind:     global_buffer
    .group_segment_fixed_size: 0
    .kernarg_segment_align: 8
    .kernarg_segment_size: 88
    .language:       OpenCL C
    .language_version:
      - 2
      - 0
    .max_flat_workgroup_size: 165
    .name:           fft_rtc_back_len1320_factors_11_2_3_5_4_wgs_165_tpt_165_sp_ip_CI_unitstride_sbrr_C2R_dirReg
    .private_segment_fixed_size: 0
    .sgpr_count:     23
    .sgpr_spill_count: 0
    .symbol:         fft_rtc_back_len1320_factors_11_2_3_5_4_wgs_165_tpt_165_sp_ip_CI_unitstride_sbrr_C2R_dirReg.kd
    .uniform_work_group_size: 1
    .uses_dynamic_stack: false
    .vgpr_count:     86
    .vgpr_spill_count: 0
    .wavefront_size: 32
    .workgroup_processor_mode: 1
amdhsa.target:   amdgcn-amd-amdhsa--gfx1030
amdhsa.version:
  - 1
  - 2
...

	.end_amdgpu_metadata
